;; amdgpu-corpus repo=zjin-lcf/HeCBench kind=compiled arch=gfx950 opt=O3
	.amdgcn_target "amdgcn-amd-amdhsa--gfx950"
	.amdhsa_code_object_version 6
	.text
	.protected	_Z9maxpool3dPKfPfiiiiiiiii ; -- Begin function _Z9maxpool3dPKfPfiiiiiiiii
	.globl	_Z9maxpool3dPKfPfiiiiiiiii
	.p2align	8
	.type	_Z9maxpool3dPKfPfiiiiiiiii,@function
_Z9maxpool3dPKfPfiiiiiiiii:             ; @_Z9maxpool3dPKfPfiiiiiiiii
; %bb.0:
	s_load_dwordx2 s[6:7], s[0:1], 0x44
	s_load_dword s20, s[0:1], 0x30
	s_load_dwordx8 s[8:15], s[0:1], 0x10
	v_and_b32_e32 v1, 0x3ff, v0
	s_waitcnt lgkmcnt(0)
	s_and_b32 s5, s7, 0xffff
	s_lshr_b32 s7, s6, 16
	s_and_b32 s6, s6, 0xffff
	s_mul_i32 s2, s2, s6
	v_add_u32_e32 v2, s2, v1
	s_mul_i32 s3, s3, s7
	v_bfe_u32 v1, v0, 10, 10
	v_add_u32_e32 v4, s3, v1
	s_mul_i32 s4, s4, s5
	v_bfe_u32 v0, v0, 20, 10
	v_add_u32_e32 v3, s4, v0
	v_cmp_gt_i32_e32 vcc, s15, v2
	v_cmp_gt_i32_e64 s[2:3], s20, v4
	s_and_b64 s[2:3], vcc, s[2:3]
	v_cmp_gt_i32_e32 vcc, s12, v3
	s_and_b64 s[2:3], s[2:3], vcc
	s_and_saveexec_b64 s[4:5], s[2:3]
	s_cbranch_execz .LBB0_16
; %bb.1:
	s_load_dwordx4 s[4:7], s[0:1], 0x0
	s_cmp_lt_i32 s11, 1
	s_cbranch_scc1 .LBB0_14
; %bb.2:
	v_mul_lo_u32 v6, v4, s9
	v_mul_lo_u32 v0, v2, s8
	s_cmp_gt_i32 s10, 0
	v_mad_u64_u32 v[6:7], s[16:17], v3, s14, v[6:7]
	s_cselect_b64 s[0:1], -1, 0
	s_cmp_lg_u32 s10, 1
	v_mad_u64_u32 v[0:1], s[16:17], s13, v6, v[0:1]
	s_cselect_b64 s[2:3], -1, 0
	s_and_b32 s21, s10, 0x7ffffffe
	v_cndmask_b32_e64 v1, 0, 1, s[0:1]
	s_cmp_lg_u32 s10, s21
	v_cmp_ne_u32_e64 s[0:1], 1, v1
	v_cndmask_b32_e64 v1, 0, 1, s[2:3]
	s_mov_b32 s12, 0
	s_cselect_b64 s[8:9], -1, 0
	s_add_i32 s22, s21, -2
	v_mov_b32_e32 v5, 0
	v_cmp_ne_u32_e64 s[2:3], 1, v1
	s_branch .LBB0_6
.LBB0_3:                                ;   in Loop: Header=BB0_6 Depth=1
	s_or_b64 exec, exec, s[18:19]
.LBB0_4:                                ;   in Loop: Header=BB0_6 Depth=1
	s_or_b64 exec, exec, s[16:17]
.LBB0_5:                                ;   in Loop: Header=BB0_6 Depth=1
	s_add_i32 s12, s12, 1
	s_cmp_eq_u32 s12, s11
	v_add_u32_e32 v0, s13, v0
	s_cbranch_scc1 .LBB0_15
.LBB0_6:                                ; =>This Loop Header: Depth=1
                                        ;     Child Loop BB0_9 Depth 2
                                        ;     Child Loop BB0_13 Depth 2
	s_and_b64 vcc, exec, s[0:1]
	v_ashrrev_i32_e32 v1, 31, v0
	s_cbranch_vccnz .LBB0_5
; %bb.7:                                ;   in Loop: Header=BB0_6 Depth=1
	s_and_b64 vcc, exec, s[2:3]
	s_cbranch_vccnz .LBB0_11
; %bb.8:                                ;   in Loop: Header=BB0_6 Depth=1
	s_mov_b32 s14, 0
	s_mov_b64 s[18:19], 0
	v_mov_b32_e32 v9, v5
                                        ; implicit-def: $sgpr16_sgpr17
.LBB0_9:                                ;   Parent Loop BB0_6 Depth=1
                                        ; =>  This Inner Loop Header: Depth=2
	v_add_u32_e32 v6, s14, v0
	v_ashrrev_i32_e32 v7, 31, v6
	s_waitcnt lgkmcnt(0)
	v_lshl_add_u64 v[6:7], v[6:7], 2, s[4:5]
	global_load_dwordx2 v[10:11], v[6:7], off
	v_mov_b32_e32 v7, v9
	s_add_i32 s23, s14, 2
	s_cmp_eq_u32 s22, s14
	s_cselect_b64 s[24:25], -1, 0
	v_mov_b32_e32 v6, v5
	v_max_f32_e32 v5, v7, v7
	v_max_f32_e32 v12, v6, v6
	v_mov_b32_e32 v8, s14
	s_mov_b32 s14, s23
	s_waitcnt vmcnt(0)
	v_cmp_u_f32_e32 vcc, v11, v11
	v_max_f32_e32 v9, v11, v11
	s_nop 0
	v_cndmask_b32_e64 v11, 0, 1, vcc
	v_cmp_u_f32_e32 vcc, v10, v10
	v_max_f32_e32 v13, v10, v10
	v_lshlrev_b16_e32 v11, 1, v11
	v_cndmask_b32_e64 v10, 0, 1, vcc
	v_bitop3_b16 v10, v10, 3, v11 bitop3:0xc8
	v_cmp_ne_u16_e32 vcc, 0, v10
	s_or_b64 s[24:25], vcc, s[24:25]
	s_and_b64 s[24:25], exec, s[24:25]
	s_or_b64 s[18:19], s[24:25], s[18:19]
	s_andn2_b64 s[16:17], s[16:17], exec
	s_and_b64 s[24:25], vcc, exec
	v_max_f32_e32 v9, v5, v9
	v_max_f32_e32 v5, v12, v13
	s_or_b64 s[16:17], s[16:17], s[24:25]
	s_andn2_b64 exec, exec, s[18:19]
	s_cbranch_execnz .LBB0_9
; %bb.10:                               ;   in Loop: Header=BB0_6 Depth=1
	s_or_b64 exec, exec, s[18:19]
	v_cndmask_b32_e64 v5, v5, v6, s[16:17]
	v_cndmask_b32_e64 v7, v9, v7, s[16:17]
	v_mov_b32_e32 v6, s21
	v_max_f32_e32 v7, v7, v7
	v_max_f32_e32 v5, v5, v5
	v_cndmask_b32_e64 v6, v6, v8, s[16:17]
	v_max_f32_e32 v5, v5, v7
	s_or_b64 s[18:19], s[8:9], s[16:17]
	s_and_saveexec_b64 s[16:17], s[18:19]
	s_cbranch_execz .LBB0_4
	s_branch .LBB0_12
.LBB0_11:                               ;   in Loop: Header=BB0_6 Depth=1
	s_mov_b64 s[18:19], -1
	v_mov_b32_e32 v6, 0
	s_and_saveexec_b64 s[16:17], s[18:19]
	s_cbranch_execz .LBB0_4
.LBB0_12:                               ;   in Loop: Header=BB0_6 Depth=1
	v_ashrrev_i32_e32 v7, 31, v6
	v_sub_u32_e32 v8, s10, v6
	v_lshl_add_u64 v[6:7], v[6:7], 0, v[0:1]
	s_waitcnt lgkmcnt(0)
	v_lshl_add_u64 v[6:7], v[6:7], 2, s[4:5]
	s_mov_b64 s[18:19], 0
.LBB0_13:                               ;   Parent Loop BB0_6 Depth=1
                                        ; =>  This Inner Loop Header: Depth=2
	global_load_dword v1, v[6:7], off
	v_add_u32_e32 v8, -1, v8
	v_max_f32_e32 v5, v5, v5
	v_cmp_eq_u32_e32 vcc, 0, v8
	v_lshl_add_u64 v[6:7], v[6:7], 0, 4
	s_or_b64 s[18:19], vcc, s[18:19]
	s_waitcnt vmcnt(0)
	v_max_f32_e32 v1, v1, v1
	v_max_f32_e32 v5, v5, v1
	s_andn2_b64 exec, exec, s[18:19]
	s_cbranch_execnz .LBB0_13
	s_branch .LBB0_3
.LBB0_14:
	v_mov_b32_e32 v5, 0
.LBB0_15:
	v_mad_u64_u32 v[6:7], s[0:1], v3, s20, v[4:5]
	v_mad_u64_u32 v[2:3], s[0:1], v6, s15, v[2:3]
	s_waitcnt lgkmcnt(0)
	v_mov_b32_e32 v0, s6
	v_mov_b32_e32 v1, s7
	v_ashrrev_i32_e32 v3, 31, v2
	v_lshl_add_u64 v[0:1], v[2:3], 2, v[0:1]
	global_store_dword v[0:1], v5, off
.LBB0_16:
	s_endpgm
	.section	.rodata,"a",@progbits
	.p2align	6, 0x0
	.amdhsa_kernel _Z9maxpool3dPKfPfiiiiiiiii
		.amdhsa_group_segment_fixed_size 0
		.amdhsa_private_segment_fixed_size 0
		.amdhsa_kernarg_size 312
		.amdhsa_user_sgpr_count 2
		.amdhsa_user_sgpr_dispatch_ptr 0
		.amdhsa_user_sgpr_queue_ptr 0
		.amdhsa_user_sgpr_kernarg_segment_ptr 1
		.amdhsa_user_sgpr_dispatch_id 0
		.amdhsa_user_sgpr_kernarg_preload_length 0
		.amdhsa_user_sgpr_kernarg_preload_offset 0
		.amdhsa_user_sgpr_private_segment_size 0
		.amdhsa_uses_dynamic_stack 0
		.amdhsa_enable_private_segment 0
		.amdhsa_system_sgpr_workgroup_id_x 1
		.amdhsa_system_sgpr_workgroup_id_y 1
		.amdhsa_system_sgpr_workgroup_id_z 1
		.amdhsa_system_sgpr_workgroup_info 0
		.amdhsa_system_vgpr_workitem_id 2
		.amdhsa_next_free_vgpr 14
		.amdhsa_next_free_sgpr 26
		.amdhsa_accum_offset 16
		.amdhsa_reserve_vcc 1
		.amdhsa_float_round_mode_32 0
		.amdhsa_float_round_mode_16_64 0
		.amdhsa_float_denorm_mode_32 3
		.amdhsa_float_denorm_mode_16_64 3
		.amdhsa_dx10_clamp 1
		.amdhsa_ieee_mode 1
		.amdhsa_fp16_overflow 0
		.amdhsa_tg_split 0
		.amdhsa_exception_fp_ieee_invalid_op 0
		.amdhsa_exception_fp_denorm_src 0
		.amdhsa_exception_fp_ieee_div_zero 0
		.amdhsa_exception_fp_ieee_overflow 0
		.amdhsa_exception_fp_ieee_underflow 0
		.amdhsa_exception_fp_ieee_inexact 0
		.amdhsa_exception_int_div_zero 0
	.end_amdhsa_kernel
	.text
.Lfunc_end0:
	.size	_Z9maxpool3dPKfPfiiiiiiiii, .Lfunc_end0-_Z9maxpool3dPKfPfiiiiiiiii
                                        ; -- End function
	.set _Z9maxpool3dPKfPfiiiiiiiii.num_vgpr, 14
	.set _Z9maxpool3dPKfPfiiiiiiiii.num_agpr, 0
	.set _Z9maxpool3dPKfPfiiiiiiiii.numbered_sgpr, 26
	.set _Z9maxpool3dPKfPfiiiiiiiii.num_named_barrier, 0
	.set _Z9maxpool3dPKfPfiiiiiiiii.private_seg_size, 0
	.set _Z9maxpool3dPKfPfiiiiiiiii.uses_vcc, 1
	.set _Z9maxpool3dPKfPfiiiiiiiii.uses_flat_scratch, 0
	.set _Z9maxpool3dPKfPfiiiiiiiii.has_dyn_sized_stack, 0
	.set _Z9maxpool3dPKfPfiiiiiiiii.has_recursion, 0
	.set _Z9maxpool3dPKfPfiiiiiiiii.has_indirect_call, 0
	.section	.AMDGPU.csdata,"",@progbits
; Kernel info:
; codeLenInByte = 692
; TotalNumSgprs: 32
; NumVgprs: 14
; NumAgprs: 0
; TotalNumVgprs: 14
; ScratchSize: 0
; MemoryBound: 0
; FloatMode: 240
; IeeeMode: 1
; LDSByteSize: 0 bytes/workgroup (compile time only)
; SGPRBlocks: 3
; VGPRBlocks: 1
; NumSGPRsForWavesPerEU: 32
; NumVGPRsForWavesPerEU: 14
; AccumOffset: 16
; Occupancy: 8
; WaveLimiterHint : 0
; COMPUTE_PGM_RSRC2:SCRATCH_EN: 0
; COMPUTE_PGM_RSRC2:USER_SGPR: 2
; COMPUTE_PGM_RSRC2:TRAP_HANDLER: 0
; COMPUTE_PGM_RSRC2:TGID_X_EN: 1
; COMPUTE_PGM_RSRC2:TGID_Y_EN: 1
; COMPUTE_PGM_RSRC2:TGID_Z_EN: 1
; COMPUTE_PGM_RSRC2:TIDIG_COMP_CNT: 2
; COMPUTE_PGM_RSRC3_GFX90A:ACCUM_OFFSET: 3
; COMPUTE_PGM_RSRC3_GFX90A:TG_SPLIT: 0
	.text
	.p2alignl 6, 3212836864
	.fill 256, 4, 3212836864
	.section	.AMDGPU.gpr_maximums,"",@progbits
	.set amdgpu.max_num_vgpr, 0
	.set amdgpu.max_num_agpr, 0
	.set amdgpu.max_num_sgpr, 0
	.text
	.type	__hip_cuid_f2e28eac264f94da,@object ; @__hip_cuid_f2e28eac264f94da
	.section	.bss,"aw",@nobits
	.globl	__hip_cuid_f2e28eac264f94da
__hip_cuid_f2e28eac264f94da:
	.byte	0                               ; 0x0
	.size	__hip_cuid_f2e28eac264f94da, 1

	.ident	"AMD clang version 22.0.0git (https://github.com/RadeonOpenCompute/llvm-project roc-7.2.4 26084 f58b06dce1f9c15707c5f808fd002e18c2accf7e)"
	.section	".note.GNU-stack","",@progbits
	.addrsig
	.addrsig_sym __hip_cuid_f2e28eac264f94da
	.amdgpu_metadata
---
amdhsa.kernels:
  - .agpr_count:     0
    .args:
      - .address_space:  global
        .offset:         0
        .size:           8
        .value_kind:     global_buffer
      - .address_space:  global
        .offset:         8
        .size:           8
        .value_kind:     global_buffer
      - .offset:         16
        .size:           4
        .value_kind:     by_value
      - .offset:         20
        .size:           4
        .value_kind:     by_value
      - .offset:         24
        .size:           4
        .value_kind:     by_value
      - .offset:         28
        .size:           4
        .value_kind:     by_value
      - .offset:         32
        .size:           4
        .value_kind:     by_value
      - .offset:         36
        .size:           4
        .value_kind:     by_value
      - .offset:         40
        .size:           4
        .value_kind:     by_value
      - .offset:         44
        .size:           4
        .value_kind:     by_value
      - .offset:         48
        .size:           4
        .value_kind:     by_value
      - .offset:         56
        .size:           4
        .value_kind:     hidden_block_count_x
      - .offset:         60
        .size:           4
        .value_kind:     hidden_block_count_y
      - .offset:         64
        .size:           4
        .value_kind:     hidden_block_count_z
      - .offset:         68
        .size:           2
        .value_kind:     hidden_group_size_x
      - .offset:         70
        .size:           2
        .value_kind:     hidden_group_size_y
      - .offset:         72
        .size:           2
        .value_kind:     hidden_group_size_z
      - .offset:         74
        .size:           2
        .value_kind:     hidden_remainder_x
      - .offset:         76
        .size:           2
        .value_kind:     hidden_remainder_y
      - .offset:         78
        .size:           2
        .value_kind:     hidden_remainder_z
      - .offset:         96
        .size:           8
        .value_kind:     hidden_global_offset_x
      - .offset:         104
        .size:           8
        .value_kind:     hidden_global_offset_y
      - .offset:         112
        .size:           8
        .value_kind:     hidden_global_offset_z
      - .offset:         120
        .size:           2
        .value_kind:     hidden_grid_dims
    .group_segment_fixed_size: 0
    .kernarg_segment_align: 8
    .kernarg_segment_size: 312
    .language:       OpenCL C
    .language_version:
      - 2
      - 0
    .max_flat_workgroup_size: 1024
    .name:           _Z9maxpool3dPKfPfiiiiiiiii
    .private_segment_fixed_size: 0
    .sgpr_count:     32
    .sgpr_spill_count: 0
    .symbol:         _Z9maxpool3dPKfPfiiiiiiiii.kd
    .uniform_work_group_size: 1
    .uses_dynamic_stack: false
    .vgpr_count:     14
    .vgpr_spill_count: 0
    .wavefront_size: 64
amdhsa.target:   amdgcn-amd-amdhsa--gfx950
amdhsa.version:
  - 1
  - 2
...

	.end_amdgpu_metadata
